;; amdgpu-corpus repo=ROCm/rocFFT kind=compiled arch=gfx950 opt=O3
	.text
	.amdgcn_target "amdgcn-amd-amdhsa--gfx950"
	.amdhsa_code_object_version 6
	.protected	bluestein_single_back_len160_dim1_dp_op_CI_CI ; -- Begin function bluestein_single_back_len160_dim1_dp_op_CI_CI
	.globl	bluestein_single_back_len160_dim1_dp_op_CI_CI
	.p2align	8
	.type	bluestein_single_back_len160_dim1_dp_op_CI_CI,@function
bluestein_single_back_len160_dim1_dp_op_CI_CI: ; @bluestein_single_back_len160_dim1_dp_op_CI_CI
; %bb.0:
	s_load_dwordx4 s[8:11], s[0:1], 0x28
	v_lshrrev_b32_e32 v1, 4, v0
	v_lshl_or_b32 v100, s2, 4, v1
	v_mov_b32_e32 v101, 0
	s_waitcnt lgkmcnt(0)
	v_cmp_gt_u64_e32 vcc, s[8:9], v[100:101]
	s_and_saveexec_b64 s[2:3], vcc
	s_cbranch_execz .LBB0_15
; %bb.1:
	s_load_dwordx2 s[8:9], s[0:1], 0x0
	s_load_dwordx2 s[12:13], s[0:1], 0x38
	v_and_b32_e32 v102, 15, v0
	v_mul_u32_u24_e32 v103, 0xa0, v1
	v_cmp_gt_u32_e32 vcc, 10, v102
	v_lshlrev_b32_e32 v101, 4, v102
	v_or_b32_e32 v72, v103, v102
	v_add_lshl_u32 v54, v103, v102, 4
	s_and_saveexec_b64 s[2:3], vcc
	s_cbranch_execz .LBB0_3
; %bb.2:
	s_load_dwordx2 s[4:5], s[0:1], 0x18
	v_mov_b32_e32 v0, s10
	v_mov_b32_e32 v1, s11
	;; [unrolled: 1-line block ×3, first 2 shown]
	s_waitcnt lgkmcnt(0)
	s_load_dwordx4 s[4:7], s[4:5], 0x0
	s_waitcnt lgkmcnt(0)
	v_mad_u64_u32 v[2:3], s[10:11], s6, v100, 0
	v_mad_u64_u32 v[4:5], s[10:11], s4, v102, 0
	v_mov_b32_e32 v6, v3
	v_mov_b32_e32 v8, v5
	v_mad_u64_u32 v[6:7], s[6:7], s7, v100, v[6:7]
	v_mov_b32_e32 v3, v6
	v_mad_u64_u32 v[6:7], s[6:7], s5, v102, v[8:9]
	v_mov_b32_e32 v5, v6
	v_lshl_add_u64 v[0:1], v[2:3], 4, v[0:1]
	v_lshl_add_u64 v[8:9], v[4:5], 4, v[0:1]
	global_load_dwordx4 v[0:3], v[8:9], off
	global_load_dwordx4 v[4:7], v101, s[8:9]
	v_mad_u64_u32 v[16:17], s[6:7], s4, v55, v[8:9]
	s_mulk_i32 s5, 0xa0
	v_add_u32_e32 v17, s5, v17
	global_load_dwordx4 v[8:11], v101, s[8:9] offset:160
	global_load_dwordx4 v[12:15], v[16:17], off
	v_mad_u64_u32 v[28:29], s[6:7], s4, v55, v[16:17]
	v_add_u32_e32 v29, s5, v29
	global_load_dwordx4 v[16:19], v[28:29], off
	global_load_dwordx4 v[20:23], v101, s[8:9] offset:320
	global_load_dwordx4 v[24:27], v101, s[8:9] offset:480
	v_mad_u64_u32 v[32:33], s[6:7], s4, v55, v[28:29]
	v_add_u32_e32 v33, s5, v33
	global_load_dwordx4 v[28:31], v[32:33], off
	v_mad_u64_u32 v[44:45], s[6:7], s4, v55, v[32:33]
	v_add_u32_e32 v45, s5, v45
	v_mad_u64_u32 v[48:49], s[6:7], s4, v55, v[44:45]
	global_load_dwordx4 v[32:35], v[44:45], off
	global_load_dwordx4 v[36:39], v101, s[8:9] offset:640
	global_load_dwordx4 v[40:43], v101, s[8:9] offset:800
	v_add_u32_e32 v49, s5, v49
	global_load_dwordx4 v[44:47], v[48:49], off
	v_mad_u64_u32 v[52:53], s[6:7], s4, v55, v[48:49]
	v_add_u32_e32 v53, s5, v53
	global_load_dwordx4 v[48:51], v[52:53], off
	global_load_dwordx4 v[56:59], v101, s[8:9] offset:960
	global_load_dwordx4 v[60:63], v101, s[8:9] offset:1120
	v_mad_u64_u32 v[52:53], s[6:7], s4, v55, v[52:53]
	v_add_u32_e32 v53, s5, v53
	global_load_dwordx4 v[64:67], v[52:53], off
	v_mad_u64_u32 v[52:53], s[6:7], s4, v55, v[52:53]
	v_add_u32_e32 v53, s5, v53
	global_load_dwordx4 v[68:71], v[52:53], off
	global_load_dwordx4 v[74:77], v101, s[8:9] offset:1280
	global_load_dwordx4 v[78:81], v101, s[8:9] offset:1440
	v_mad_u64_u32 v[52:53], s[6:7], s4, v55, v[52:53]
	;; [unrolled: 8-line block ×4, first 2 shown]
	v_add_u32_e32 v53, s5, v53
	global_load_dwordx4 v[120:123], v[52:53], off
	v_mad_u64_u32 v[52:53], s[6:7], s4, v55, v[52:53]
	v_add_u32_e32 v53, s5, v53
	global_load_dwordx4 v[124:127], v[52:53], off
	global_load_dwordx4 v[128:131], v101, s[8:9] offset:2240
	v_mad_u64_u32 v[52:53], s[6:7], s4, v55, v[52:53]
	v_add_u32_e32 v53, s5, v53
	global_load_dwordx4 v[132:135], v[52:53], off
	global_load_dwordx4 v[136:139], v101, s[8:9] offset:2400
	v_lshlrev_b32_e32 v55, 4, v72
	s_waitcnt vmcnt(30)
	v_mul_f64 v[52:53], v[0:1], v[6:7]
	v_mul_f64 v[140:141], v[2:3], v[6:7]
	v_fma_f64 v[142:143], v[2:3], v[4:5], -v[52:53]
	v_fmac_f64_e32 v[140:141], v[0:1], v[4:5]
	ds_write_b128 v55, v[140:143]
	s_waitcnt vmcnt(28)
	v_mul_f64 v[0:1], v[14:15], v[10:11]
	v_mul_f64 v[2:3], v[12:13], v[10:11]
	v_fmac_f64_e32 v[0:1], v[12:13], v[8:9]
	v_fma_f64 v[2:3], v[14:15], v[8:9], -v[2:3]
	ds_write_b128 v54, v[0:3] offset:160
	s_waitcnt vmcnt(26)
	v_mul_f64 v[0:1], v[16:17], v[22:23]
	v_fma_f64 v[2:3], v[18:19], v[20:21], -v[0:1]
	v_mul_f64 v[0:1], v[18:19], v[22:23]
	v_fmac_f64_e32 v[0:1], v[16:17], v[20:21]
	v_lshl_add_u32 v4, v103, 4, v101
	ds_write_b128 v4, v[0:3] offset:320
	s_waitcnt vmcnt(24)
	v_mul_f64 v[0:1], v[30:31], v[26:27]
	v_mul_f64 v[2:3], v[28:29], v[26:27]
	v_fmac_f64_e32 v[0:1], v[28:29], v[24:25]
	v_fma_f64 v[2:3], v[30:31], v[24:25], -v[2:3]
	ds_write_b128 v4, v[0:3] offset:480
	s_waitcnt vmcnt(22)
	v_mul_f64 v[0:1], v[34:35], v[38:39]
	v_mul_f64 v[2:3], v[32:33], v[38:39]
	v_fmac_f64_e32 v[0:1], v[32:33], v[36:37]
	v_fma_f64 v[2:3], v[34:35], v[36:37], -v[2:3]
	;; [unrolled: 6-line block ×13, first 2 shown]
	ds_write_b128 v4, v[0:3] offset:2400
.LBB0_3:
	s_or_b64 exec, exec, s[2:3]
	s_load_dwordx2 s[2:3], s[0:1], 0x20
	s_load_dwordx2 s[4:5], s[0:1], 0x8
	v_lshlrev_b32_e32 v105, 4, v103
	s_waitcnt lgkmcnt(0)
	s_barrier
	s_waitcnt lgkmcnt(0)
                                        ; implicit-def: $vgpr0_vgpr1
                                        ; implicit-def: $vgpr12_vgpr13
                                        ; implicit-def: $vgpr28_vgpr29
                                        ; implicit-def: $vgpr52_vgpr53
                                        ; implicit-def: $vgpr56_vgpr57
                                        ; implicit-def: $vgpr44_vgpr45
                                        ; implicit-def: $vgpr48_vgpr49
                                        ; implicit-def: $vgpr36_vgpr37
                                        ; implicit-def: $vgpr40_vgpr41
                                        ; implicit-def: $vgpr32_vgpr33
                                        ; implicit-def: $vgpr24_vgpr25
                                        ; implicit-def: $vgpr16_vgpr17
                                        ; implicit-def: $vgpr20_vgpr21
                                        ; implicit-def: $vgpr4_vgpr5
                                        ; implicit-def: $vgpr8_vgpr9
                                        ; implicit-def: $vgpr60_vgpr61
	s_and_saveexec_b64 s[0:1], vcc
	s_cbranch_execz .LBB0_5
; %bb.4:
	v_lshlrev_b32_e32 v0, 4, v72
	v_lshl_add_u32 v52, v102, 4, v105
	ds_read_b128 v[0:3], v0
	ds_read_b128 v[8:11], v52 offset:320
	ds_read_b128 v[4:7], v52 offset:480
	;; [unrolled: 1-line block ×15, first 2 shown]
.LBB0_5:
	s_or_b64 exec, exec, s[0:1]
	s_waitcnt lgkmcnt(8)
	v_add_f64 v[32:33], v[0:1], -v[32:33]
	v_add_f64 v[34:35], v[2:3], -v[34:35]
	s_waitcnt lgkmcnt(4)
	v_add_f64 v[48:49], v[20:21], -v[48:49]
	v_add_f64 v[42:43], v[10:11], -v[42:43]
	s_waitcnt lgkmcnt(2)
	v_add_f64 v[58:59], v[14:15], -v[58:59]
	v_fma_f64 v[0:1], v[0:1], 2.0, -v[32:33]
	v_add_f64 v[50:51], v[22:23], -v[50:51]
	v_fma_f64 v[20:21], v[20:21], 2.0, -v[48:49]
	;; [unrolled: 2-line block ×4, first 2 shown]
	v_add_f64 v[38:39], v[6:7], -v[38:39]
	s_waitcnt lgkmcnt(0)
	v_add_f64 v[54:55], v[26:27], -v[54:55]
	v_add_f64 v[48:49], v[34:35], v[48:49]
	v_fma_f64 v[2:3], v[2:3], 2.0, -v[34:35]
	v_fma_f64 v[22:23], v[22:23], 2.0, -v[50:51]
	;; [unrolled: 1-line block ×4, first 2 shown]
	v_add_f64 v[28:29], v[60:61], -v[28:29]
	v_add_f64 v[30:31], v[62:63], -v[30:31]
	;; [unrolled: 1-line block ×5, first 2 shown]
	v_fma_f64 v[68:69], v[6:7], 2.0, -v[38:39]
	v_add_f64 v[52:53], v[24:25], -v[52:53]
	v_fma_f64 v[26:27], v[26:27], 2.0, -v[54:55]
	v_add_f64 v[70:71], v[0:1], -v[20:21]
	v_add_f64 v[50:51], v[32:33], -v[50:51]
	v_fma_f64 v[12:13], v[34:35], 2.0, -v[48:49]
	v_add_f64 v[34:35], v[10:11], -v[14:15]
	s_mov_b32 s0, 0x667f3bcd
	v_fma_f64 v[60:61], v[60:61], 2.0, -v[28:29]
	v_fma_f64 v[62:63], v[62:63], 2.0, -v[30:31]
	;; [unrolled: 1-line block ×6, first 2 shown]
	v_add_f64 v[22:23], v[2:3], -v[22:23]
	v_fma_f64 v[6:7], v[32:33], 2.0, -v[50:51]
	v_add_f64 v[32:33], v[8:9], -v[64:65]
	v_add_f64 v[58:59], v[40:41], -v[58:59]
	v_add_f64 v[56:57], v[56:57], v[42:43]
	v_add_f64 v[46:47], v[28:29], -v[46:47]
	v_add_f64 v[44:45], v[44:45], v[30:31]
	v_add_f64 v[80:81], v[68:69], -v[26:27]
	s_mov_b32 s1, 0xbfe6a09e
	s_mov_b32 s17, 0x3fe6a09e
	;; [unrolled: 1-line block ×3, first 2 shown]
	v_add_f64 v[64:65], v[70:71], -v[34:35]
	v_fma_f64 v[0:1], v[0:1], 2.0, -v[70:71]
	v_fma_f64 v[2:3], v[2:3], 2.0, -v[22:23]
	v_fma_f64 v[14:15], v[8:9], 2.0, -v[32:33]
	v_fma_f64 v[20:21], v[10:11], 2.0, -v[34:35]
	v_fma_f64 v[40:41], v[40:41], 2.0, -v[58:59]
	v_fma_f64 v[42:43], v[42:43], 2.0, -v[56:57]
	v_add_f64 v[74:75], v[60:61], -v[16:17]
	v_add_f64 v[76:77], v[62:63], -v[18:19]
	v_fma_f64 v[16:17], v[28:29], 2.0, -v[46:47]
	v_fma_f64 v[18:19], v[30:31], 2.0, -v[44:45]
	v_add_f64 v[78:79], v[66:67], -v[24:25]
	v_fma_f64 v[30:31], v[68:69], 2.0, -v[80:81]
	v_fma_f64 v[28:29], v[70:71], 2.0, -v[64:65]
	v_fma_f64 v[68:69], s[16:17], v[58:59], v[50:51]
	v_fma_f64 v[70:71], s[16:17], v[56:57], v[48:49]
	v_add_f64 v[54:55], v[36:37], -v[54:55]
	v_add_f64 v[52:53], v[52:53], v[38:39]
	v_add_f64 v[10:11], v[0:1], -v[14:15]
	v_add_f64 v[14:15], v[2:3], -v[20:21]
	v_fma_f64 v[20:21], s[0:1], v[40:41], v[6:7]
	v_fma_f64 v[24:25], s[0:1], v[42:43], v[12:13]
	v_fmac_f64_e32 v[68:69], s[0:1], v[56:57]
	v_fmac_f64_e32 v[70:71], s[16:17], v[58:59]
	v_add_f64 v[56:57], v[74:75], -v[80:81]
	v_add_f64 v[58:59], v[78:79], v[76:77]
	v_fma_f64 v[4:5], v[60:61], 2.0, -v[74:75]
	v_fma_f64 v[8:9], v[62:63], 2.0, -v[76:77]
	v_fmac_f64_e32 v[20:21], s[0:1], v[42:43]
	v_fmac_f64_e32 v[24:25], s[16:17], v[40:41]
	v_fma_f64 v[40:41], v[74:75], 2.0, -v[56:57]
	v_fma_f64 v[42:43], v[76:77], 2.0, -v[58:59]
	v_fma_f64 v[74:75], s[16:17], v[54:55], v[46:47]
	v_fma_f64 v[76:77], s[16:17], v[52:53], v[44:45]
	v_fma_f64 v[26:27], v[66:67], 2.0, -v[78:79]
	v_fma_f64 v[36:37], v[36:37], 2.0, -v[54:55]
	;; [unrolled: 1-line block ×3, first 2 shown]
	v_add_f64 v[66:67], v[22:23], v[32:33]
	v_fmac_f64_e32 v[74:75], s[0:1], v[52:53]
	v_fmac_f64_e32 v[76:77], s[16:17], v[54:55]
	s_mov_b32 s6, 0xa6aea964
	v_fma_f64 v[32:33], v[22:23], 2.0, -v[66:67]
	v_fma_f64 v[60:61], v[50:51], 2.0, -v[68:69]
	;; [unrolled: 1-line block ×3, first 2 shown]
	v_add_f64 v[22:23], v[4:5], -v[26:27]
	v_add_f64 v[26:27], v[8:9], -v[30:31]
	v_fma_f64 v[30:31], s[0:1], v[36:37], v[16:17]
	v_fma_f64 v[34:35], s[0:1], v[38:39], v[18:19]
	v_fma_f64 v[48:49], v[46:47], 2.0, -v[74:75]
	v_fma_f64 v[50:51], v[44:45], 2.0, -v[76:77]
	s_mov_b32 s7, 0xbfd87de2
	s_mov_b32 s10, 0xcf328d46
	v_fmac_f64_e32 v[30:31], s[0:1], v[38:39]
	v_fmac_f64_e32 v[34:35], s[16:17], v[36:37]
	v_fma_f64 v[44:45], s[6:7], v[48:49], v[60:61]
	v_fma_f64 v[46:47], s[6:7], v[50:51], v[62:63]
	s_mov_b32 s11, 0xbfed906b
	s_mov_b32 s19, 0x3fed906b
	;; [unrolled: 1-line block ×5, first 2 shown]
	v_fma_f64 v[52:53], s[16:17], v[56:57], v[64:65]
	v_fma_f64 v[54:55], s[16:17], v[58:59], v[66:67]
	;; [unrolled: 1-line block ×4, first 2 shown]
	v_fmac_f64_e32 v[44:45], s[10:11], v[50:51]
	v_fmac_f64_e32 v[46:47], s[18:19], v[48:49]
	v_fma_f64 v[48:49], s[14:15], v[30:31], v[20:21]
	v_fma_f64 v[50:51], s[14:15], v[34:35], v[24:25]
	v_fmac_f64_e32 v[52:53], s[0:1], v[58:59]
	v_fmac_f64_e32 v[54:55], s[16:17], v[56:57]
	v_fma_f64 v[56:57], s[18:19], v[74:75], v[68:69]
	v_fma_f64 v[58:59], s[18:19], v[76:77], v[70:71]
	v_fmac_f64_e32 v[36:37], s[0:1], v[42:43]
	v_fmac_f64_e32 v[38:39], s[16:17], v[40:41]
	v_add_f64 v[40:41], v[10:11], -v[26:27]
	v_add_f64 v[42:43], v[14:15], v[22:23]
	v_fmac_f64_e32 v[48:49], s[10:11], v[34:35]
	v_fmac_f64_e32 v[50:51], s[18:19], v[30:31]
	;; [unrolled: 1-line block ×4, first 2 shown]
	s_barrier
	s_and_saveexec_b64 s[0:1], vcc
	s_cbranch_execz .LBB0_7
; %bb.6:
	v_fma_f64 v[76:77], v[24:25], 2.0, -v[50:51]
	v_fma_f64 v[12:13], v[12:13], 2.0, -v[24:25]
	;; [unrolled: 1-line block ×3, first 2 shown]
	v_fma_f64 v[18:19], s[10:11], v[24:25], v[12:13]
	v_fma_f64 v[16:17], v[16:17], 2.0, -v[30:31]
	v_fma_f64 v[6:7], v[6:7], 2.0, -v[20:21]
	v_fmac_f64_e32 v[18:19], s[14:15], v[16:17]
	v_fma_f64 v[16:17], s[10:11], v[16:17], v[6:7]
	v_fmac_f64_e32 v[16:17], s[6:7], v[24:25]
	v_fma_f64 v[82:83], v[28:29], 2.0, -v[36:37]
	v_fma_f64 v[28:29], v[6:7], 2.0, -v[16:17]
	;; [unrolled: 1-line block ×6, first 2 shown]
	v_add_f64 v[2:3], v[6:7], -v[2:3]
	v_add_f64 v[0:1], v[8:9], -v[0:1]
	v_fma_f64 v[6:7], v[6:7], 2.0, -v[2:3]
	v_fma_f64 v[4:5], v[8:9], 2.0, -v[0:1]
	v_add_lshl_u32 v8, v103, v101, 4
	v_fma_f64 v[70:71], v[70:71], 2.0, -v[58:59]
	v_fma_f64 v[68:69], v[68:69], 2.0, -v[56:57]
	;; [unrolled: 1-line block ×11, first 2 shown]
	ds_write_b128 v8, v[4:7]
	ds_write_b128 v8, v[28:31] offset:16
	ds_write_b128 v8, v[82:85] offset:32
	;; [unrolled: 1-line block ×15, first 2 shown]
.LBB0_7:
	s_or_b64 exec, exec, s[0:1]
	s_movk_i32 s6, 0x90
	v_mov_b64_e32 v[0:1], s[4:5]
	v_lshlrev_b32_e32 v104, 4, v72
	v_mad_u64_u32 v[86:87], s[4:5], v102, s6, v[0:1]
	s_load_dwordx4 s[0:3], s[2:3], 0x0
	s_waitcnt lgkmcnt(0)
	s_barrier
	ds_read_b128 v[92:95], v104
	ds_read_b128 v[12:15], v104 offset:256
	ds_read_b128 v[16:19], v104 offset:512
	;; [unrolled: 1-line block ×9, first 2 shown]
	global_load_dwordx4 v[0:3], v[86:87], off offset:48
	global_load_dwordx4 v[4:7], v[86:87], off offset:32
	;; [unrolled: 1-line block ×3, first 2 shown]
	global_load_dwordx4 v[24:27], v[86:87], off
	s_mov_b32 s6, 0x134454ff
	s_mov_b32 s7, 0x3fee6f0e
	;; [unrolled: 1-line block ×12, first 2 shown]
	v_lshl_add_u32 v105, v102, 4, v105
	s_waitcnt vmcnt(3) lgkmcnt(5)
	v_mul_f64 v[76:77], v[28:29], v[2:3]
	v_fmac_f64_e32 v[76:77], v[30:31], v[0:1]
	s_waitcnt vmcnt(1)
	v_mul_f64 v[70:71], v[16:17], v[10:11]
	s_waitcnt vmcnt(0)
	v_mul_f64 v[64:65], v[14:15], v[26:27]
	v_fma_f64 v[74:75], v[12:13], v[24:25], -v[64:65]
	v_mul_f64 v[78:79], v[12:13], v[26:27]
	v_mul_f64 v[12:13], v[18:19], v[10:11]
	v_fma_f64 v[88:89], v[16:17], v[8:9], -v[12:13]
	v_mul_f64 v[12:13], v[22:23], v[6:7]
	v_fma_f64 v[66:67], v[20:21], v[4:5], -v[12:13]
	v_mul_f64 v[64:65], v[20:21], v[6:7]
	v_mul_f64 v[12:13], v[30:31], v[2:3]
	v_fmac_f64_e32 v[78:79], v[14:15], v[24:25]
	v_fmac_f64_e32 v[70:71], v[18:19], v[8:9]
	v_fmac_f64_e32 v[64:65], v[22:23], v[4:5]
	v_fma_f64 v[96:97], v[28:29], v[0:1], -v[12:13]
	global_load_dwordx4 v[12:15], v[86:87], off offset:112
	global_load_dwordx4 v[16:19], v[86:87], off offset:96
	;; [unrolled: 1-line block ×4, first 2 shown]
	v_add_f64 v[116:117], v[88:89], -v[96:97]
	s_waitcnt vmcnt(2) lgkmcnt(2)
	v_mul_f64 v[72:73], v[106:107], v[18:19]
	s_waitcnt vmcnt(1)
	v_mul_f64 v[114:115], v[80:81], v[22:23]
	s_waitcnt vmcnt(0)
	v_mul_f64 v[68:69], v[34:35], v[30:31]
	v_fma_f64 v[84:85], v[32:33], v[28:29], -v[68:69]
	v_mul_f64 v[68:69], v[32:33], v[30:31]
	v_mul_f64 v[32:33], v[82:83], v[22:23]
	v_fma_f64 v[98:99], v[80:81], v[20:21], -v[32:33]
	v_mul_f64 v[32:33], v[108:109], v[18:19]
	v_fma_f64 v[90:91], v[106:107], v[16:17], -v[32:33]
	s_waitcnt lgkmcnt(1)
	v_mul_f64 v[32:33], v[112:113], v[14:15]
	v_fmac_f64_e32 v[68:69], v[34:35], v[28:29]
	v_fma_f64 v[106:107], v[110:111], v[12:13], -v[32:33]
	global_load_dwordx4 v[32:35], v[86:87], off offset:128
	v_fmac_f64_e32 v[72:73], v[108:109], v[16:17]
	v_mul_f64 v[108:109], v[110:111], v[14:15]
	v_fmac_f64_e32 v[108:109], v[112:113], v[12:13]
	v_fmac_f64_e32 v[114:115], v[82:83], v[20:21]
	v_add_f64 v[112:113], v[76:77], -v[114:115]
	v_add_f64 v[118:119], v[106:107], -v[98:99]
	v_add_f64 v[116:117], v[116:117], v[118:119]
	v_add_f64 v[118:119], v[96:97], -v[88:89]
	v_add_f64 v[120:121], v[98:99], -v[106:107]
	v_add_f64 v[118:119], v[118:119], v[120:121]
	s_waitcnt vmcnt(0) lgkmcnt(0)
	v_mul_f64 v[80:81], v[62:63], v[34:35]
	v_fma_f64 v[110:111], v[60:61], v[32:33], -v[80:81]
	v_mul_f64 v[60:61], v[60:61], v[34:35]
	v_fmac_f64_e32 v[60:61], v[62:63], v[32:33]
	v_add_f64 v[62:63], v[92:93], v[88:89]
	v_add_f64 v[62:63], v[62:63], v[96:97]
	;; [unrolled: 1-line block ×5, first 2 shown]
	v_fma_f64 v[82:83], -0.5, v[62:63], v[92:93]
	v_add_f64 v[62:63], v[70:71], -v[108:109]
	v_fma_f64 v[86:87], s[6:7], v[62:63], v[82:83]
	v_fmac_f64_e32 v[82:83], s[14:15], v[62:63]
	v_fmac_f64_e32 v[86:87], s[10:11], v[112:113]
	;; [unrolled: 1-line block ×5, first 2 shown]
	v_add_f64 v[116:117], v[88:89], v[106:107]
	v_fmac_f64_e32 v[92:93], -0.5, v[116:117]
	v_fma_f64 v[116:117], s[14:15], v[112:113], v[92:93]
	v_fmac_f64_e32 v[92:93], s[6:7], v[112:113]
	v_fmac_f64_e32 v[116:117], s[10:11], v[62:63]
	;; [unrolled: 1-line block ×3, first 2 shown]
	v_add_f64 v[62:63], v[94:95], v[70:71]
	v_add_f64 v[62:63], v[62:63], v[76:77]
	v_add_f64 v[62:63], v[62:63], v[114:115]
	v_add_f64 v[112:113], v[62:63], v[108:109]
	v_add_f64 v[62:63], v[76:77], v[114:115]
	v_fmac_f64_e32 v[116:117], s[4:5], v[118:119]
	v_fmac_f64_e32 v[92:93], s[4:5], v[118:119]
	v_fma_f64 v[118:119], -0.5, v[62:63], v[94:95]
	v_add_f64 v[62:63], v[88:89], -v[106:107]
	v_fma_f64 v[106:107], s[14:15], v[62:63], v[118:119]
	v_add_f64 v[88:89], v[96:97], -v[98:99]
	v_add_f64 v[96:97], v[70:71], -v[76:77]
	;; [unrolled: 1-line block ×3, first 2 shown]
	v_fmac_f64_e32 v[118:119], s[6:7], v[62:63]
	v_fmac_f64_e32 v[106:107], s[16:17], v[88:89]
	v_add_f64 v[96:97], v[96:97], v[98:99]
	v_fmac_f64_e32 v[118:119], s[10:11], v[88:89]
	v_fmac_f64_e32 v[106:107], s[4:5], v[96:97]
	;; [unrolled: 1-line block ×3, first 2 shown]
	v_add_f64 v[96:97], v[70:71], v[108:109]
	v_fmac_f64_e32 v[94:95], -0.5, v[96:97]
	v_fma_f64 v[98:99], s[6:7], v[88:89], v[94:95]
	v_fmac_f64_e32 v[94:95], s[14:15], v[88:89]
	v_fmac_f64_e32 v[98:99], s[16:17], v[62:63]
	;; [unrolled: 1-line block ×3, first 2 shown]
	v_add_f64 v[62:63], v[74:75], v[66:67]
	v_add_f64 v[62:63], v[62:63], v[84:85]
	;; [unrolled: 1-line block ×3, first 2 shown]
	v_add_f64 v[70:71], v[76:77], -v[70:71]
	v_add_f64 v[76:77], v[114:115], -v[108:109]
	v_add_f64 v[88:89], v[62:63], v[110:111]
	v_add_f64 v[62:63], v[84:85], v[90:91]
	;; [unrolled: 1-line block ×3, first 2 shown]
	v_fma_f64 v[96:97], -0.5, v[62:63], v[74:75]
	v_add_f64 v[62:63], v[64:65], -v[60:61]
	v_fmac_f64_e32 v[98:99], s[4:5], v[70:71]
	v_fmac_f64_e32 v[94:95], s[4:5], v[70:71]
	v_fma_f64 v[70:71], s[6:7], v[62:63], v[96:97]
	v_add_f64 v[76:77], v[68:69], -v[72:73]
	v_add_f64 v[108:109], v[66:67], -v[84:85]
	;; [unrolled: 1-line block ×3, first 2 shown]
	v_fmac_f64_e32 v[96:97], s[14:15], v[62:63]
	v_fmac_f64_e32 v[70:71], s[10:11], v[76:77]
	v_add_f64 v[108:109], v[108:109], v[114:115]
	v_fmac_f64_e32 v[96:97], s[16:17], v[76:77]
	v_fmac_f64_e32 v[70:71], s[4:5], v[108:109]
	;; [unrolled: 1-line block ×3, first 2 shown]
	v_add_f64 v[108:109], v[66:67], v[110:111]
	v_fmac_f64_e32 v[74:75], -0.5, v[108:109]
	v_fma_f64 v[108:109], s[14:15], v[76:77], v[74:75]
	v_fmac_f64_e32 v[74:75], s[6:7], v[76:77]
	v_fmac_f64_e32 v[108:109], s[10:11], v[62:63]
	;; [unrolled: 1-line block ×3, first 2 shown]
	v_add_f64 v[62:63], v[78:79], v[64:65]
	v_add_f64 v[114:115], v[84:85], -v[66:67]
	v_add_f64 v[120:121], v[90:91], -v[110:111]
	v_add_f64 v[62:63], v[62:63], v[68:69]
	v_add_f64 v[114:115], v[114:115], v[120:121]
	;; [unrolled: 1-line block ×3, first 2 shown]
	v_fmac_f64_e32 v[108:109], s[4:5], v[114:115]
	v_fmac_f64_e32 v[74:75], s[4:5], v[114:115]
	v_add_f64 v[114:115], v[62:63], v[60:61]
	v_add_f64 v[62:63], v[68:69], v[72:73]
	v_fma_f64 v[120:121], -0.5, v[62:63], v[78:79]
	v_add_f64 v[62:63], v[66:67], -v[110:111]
	v_fma_f64 v[66:67], s[14:15], v[62:63], v[120:121]
	v_add_f64 v[76:77], v[84:85], -v[90:91]
	v_add_f64 v[84:85], v[64:65], -v[68:69]
	;; [unrolled: 1-line block ×3, first 2 shown]
	v_fmac_f64_e32 v[120:121], s[6:7], v[62:63]
	v_fmac_f64_e32 v[66:67], s[16:17], v[76:77]
	v_add_f64 v[84:85], v[84:85], v[90:91]
	v_fmac_f64_e32 v[120:121], s[10:11], v[76:77]
	v_fmac_f64_e32 v[66:67], s[4:5], v[84:85]
	;; [unrolled: 1-line block ×3, first 2 shown]
	v_add_f64 v[84:85], v[64:65], v[60:61]
	v_fmac_f64_e32 v[78:79], -0.5, v[84:85]
	v_fma_f64 v[84:85], s[6:7], v[76:77], v[78:79]
	v_add_f64 v[64:65], v[68:69], -v[64:65]
	v_add_f64 v[60:61], v[72:73], -v[60:61]
	v_fmac_f64_e32 v[78:79], s[14:15], v[76:77]
	v_fmac_f64_e32 v[84:85], s[16:17], v[62:63]
	v_add_f64 v[60:61], v[64:65], v[60:61]
	v_fmac_f64_e32 v[78:79], s[10:11], v[62:63]
	v_fmac_f64_e32 v[84:85], s[4:5], v[60:61]
	;; [unrolled: 1-line block ×3, first 2 shown]
	v_mul_f64 v[62:63], v[74:75], s[4:5]
	v_mul_f64 v[110:111], v[84:85], s[6:7]
	v_fma_f64 v[122:123], v[78:79], s[6:7], -v[62:63]
	v_mul_f64 v[78:79], v[78:79], s[4:5]
	v_mul_f64 v[90:91], v[66:67], s[10:11]
	v_fmac_f64_e32 v[110:111], s[4:5], v[108:109]
	v_mul_f64 v[62:63], v[96:97], s[18:19]
	v_mul_f64 v[126:127], v[70:71], s[16:17]
	;; [unrolled: 1-line block ×3, first 2 shown]
	v_fma_f64 v[128:129], v[74:75], s[14:15], -v[78:79]
	v_mul_f64 v[74:75], v[120:121], s[18:19]
	v_fmac_f64_e32 v[90:91], s[18:19], v[70:71]
	v_fma_f64 v[124:125], v[120:121], s[10:11], -v[62:63]
	v_fmac_f64_e32 v[126:127], s[18:19], v[66:67]
	v_fmac_f64_e32 v[108:109], s[4:5], v[84:85]
	v_fma_f64 v[120:121], v[96:97], s[16:17], -v[74:75]
	v_add_f64 v[60:61], v[80:81], v[88:89]
	v_add_f64 v[64:65], v[86:87], v[90:91]
	;; [unrolled: 1-line block ×10, first 2 shown]
	v_add_f64 v[80:81], v[80:81], -v[88:89]
	v_add_f64 v[84:85], v[86:87], -v[90:91]
	;; [unrolled: 1-line block ×10, first 2 shown]
	ds_write_b128 v104, v[60:63]
	ds_write_b128 v104, v[64:67] offset:256
	ds_write_b128 v105, v[68:71] offset:512
	;; [unrolled: 1-line block ×9, first 2 shown]
	s_waitcnt lgkmcnt(0)
	s_barrier
	s_and_saveexec_b64 s[4:5], vcc
	s_cbranch_execz .LBB0_9
; %bb.8:
	global_load_dwordx4 v[110:113], v101, s[8:9] offset:2560
	ds_read_b128 v[106:109], v104
	s_add_u32 s6, s8, 0xa00
	s_addc_u32 s7, s9, 0
	s_waitcnt vmcnt(0) lgkmcnt(0)
	v_mul_f64 v[114:115], v[108:109], v[112:113]
	v_mul_f64 v[116:117], v[106:107], v[112:113]
	v_fma_f64 v[114:115], v[106:107], v[110:111], -v[114:115]
	v_fmac_f64_e32 v[116:117], v[108:109], v[110:111]
	global_load_dwordx4 v[110:113], v101, s[6:7] offset:160
	ds_write_b128 v104, v[114:117]
	ds_read_b128 v[106:109], v105 offset:160
	s_waitcnt vmcnt(0) lgkmcnt(0)
	v_mul_f64 v[114:115], v[108:109], v[112:113]
	v_mul_f64 v[116:117], v[106:107], v[112:113]
	v_fma_f64 v[114:115], v[106:107], v[110:111], -v[114:115]
	v_fmac_f64_e32 v[116:117], v[108:109], v[110:111]
	global_load_dwordx4 v[110:113], v101, s[6:7] offset:320
	ds_read_b128 v[106:109], v105 offset:320
	ds_write_b128 v105, v[114:117] offset:160
	s_waitcnt vmcnt(0) lgkmcnt(1)
	v_mul_f64 v[114:115], v[108:109], v[112:113]
	v_mul_f64 v[116:117], v[106:107], v[112:113]
	v_fma_f64 v[114:115], v[106:107], v[110:111], -v[114:115]
	v_fmac_f64_e32 v[116:117], v[108:109], v[110:111]
	global_load_dwordx4 v[110:113], v101, s[6:7] offset:480
	ds_read_b128 v[106:109], v105 offset:480
	ds_write_b128 v105, v[114:117] offset:320
	;; [unrolled: 8-line block ×14, first 2 shown]
	s_waitcnt vmcnt(0) lgkmcnt(1)
	v_mul_f64 v[114:115], v[108:109], v[112:113]
	v_mul_f64 v[116:117], v[106:107], v[112:113]
	v_fma_f64 v[114:115], v[106:107], v[110:111], -v[114:115]
	v_fmac_f64_e32 v[116:117], v[108:109], v[110:111]
	ds_write_b128 v105, v[114:117] offset:2400
.LBB0_9:
	s_or_b64 exec, exec, s[4:5]
	s_waitcnt lgkmcnt(0)
	s_barrier
	s_and_saveexec_b64 s[4:5], vcc
	s_cbranch_execz .LBB0_11
; %bb.10:
	ds_read_b128 v[60:63], v104
	ds_read_b128 v[64:67], v105 offset:160
	ds_read_b128 v[68:71], v105 offset:320
	ds_read_b128 v[76:79], v105 offset:480
	ds_read_b128 v[72:75], v105 offset:640
	ds_read_b128 v[80:83], v105 offset:800
	ds_read_b128 v[84:87], v105 offset:960
	ds_read_b128 v[88:91], v105 offset:1120
	ds_read_b128 v[92:95], v105 offset:1280
	ds_read_b128 v[96:99], v105 offset:1440
	ds_read_b128 v[36:39], v105 offset:1600
	ds_read_b128 v[44:47], v105 offset:1760
	ds_read_b128 v[40:43], v105 offset:1920
	ds_read_b128 v[48:51], v105 offset:2080
	ds_read_b128 v[52:55], v105 offset:2240
	ds_read_b128 v[56:59], v105 offset:2400
.LBB0_11:
	s_or_b64 exec, exec, s[4:5]
	s_waitcnt lgkmcnt(0)
	s_barrier
	s_and_saveexec_b64 s[4:5], vcc
	s_cbranch_execz .LBB0_13
; %bb.12:
	v_add_f64 v[114:115], v[68:69], -v[36:37]
	v_add_f64 v[118:119], v[78:79], -v[46:47]
	;; [unrolled: 1-line block ×10, first 2 shown]
	v_add_f64 v[134:135], v[92:93], v[50:51]
	v_fma_f64 v[50:51], v[74:75], 2.0, -v[50:51]
	v_fma_f64 v[74:75], v[68:69], 2.0, -v[114:115]
	;; [unrolled: 1-line block ×4, first 2 shown]
	v_add_f64 v[96:97], v[64:65], -v[96:97]
	v_add_f64 v[76:77], v[68:69], -v[46:47]
	v_fma_f64 v[78:79], v[78:79], 2.0, -v[118:119]
	v_fma_f64 v[46:47], v[90:91], 2.0, -v[58:59]
	v_add_f64 v[106:107], v[70:71], -v[38:39]
	v_add_f64 v[94:95], v[62:63], -v[94:95]
	;; [unrolled: 1-line block ×5, first 2 shown]
	v_fma_f64 v[64:65], v[64:65], 2.0, -v[96:97]
	v_fma_f64 v[46:47], v[80:81], 2.0, -v[120:121]
	v_add_f64 v[52:53], v[84:85], -v[52:53]
	v_add_f64 v[40:41], v[72:73], -v[40:41]
	s_mov_b32 s6, 0x667f3bcd
	v_add_f64 v[122:123], v[98:99], -v[120:121]
	v_fma_f64 v[62:63], v[62:63], 2.0, -v[94:95]
	v_add_f64 v[120:121], v[64:65], -v[46:47]
	v_fma_f64 v[70:71], v[70:71], 2.0, -v[106:107]
	v_fma_f64 v[46:47], v[86:87], 2.0, -v[54:55]
	v_add_f64 v[108:109], v[106:107], -v[52:53]
	v_add_f64 v[110:111], v[94:95], -v[40:41]
	s_mov_b32 s7, 0x3fe6a09e
	v_add_f64 v[128:129], v[58:59], v[126:127]
	v_add_f64 v[138:139], v[62:63], -v[50:51]
	v_add_f64 v[80:81], v[70:71], -v[46:47]
	v_fma_f64 v[112:113], s[6:7], v[108:109], v[110:111]
	v_add_f64 v[116:117], v[54:55], v[114:115]
	s_mov_b32 s11, 0xbfe6a09e
	s_mov_b32 s10, s6
	v_fma_f64 v[124:125], s[6:7], v[56:57], v[122:123]
	v_add_f64 v[130:131], v[48:49], v[96:97]
	v_fma_f64 v[50:51], v[84:85], 2.0, -v[52:53]
	v_fma_f64 v[86:87], v[60:61], 2.0, -v[92:93]
	;; [unrolled: 1-line block ×6, first 2 shown]
	v_fmac_f64_e32 v[112:113], s[10:11], v[116:117]
	v_fmac_f64_e32 v[124:125], s[10:11], v[128:129]
	v_fma_f64 v[132:133], s[6:7], v[128:129], v[130:131]
	s_mov_b32 s14, 0xa6aea964
	v_fma_f64 v[136:137], s[6:7], v[116:117], v[134:135]
	v_add_f64 v[84:85], v[74:75], -v[50:51]
	v_fma_f64 v[66:67], v[66:67], 2.0, -v[98:99]
	v_add_f64 v[40:41], v[86:87], -v[40:41]
	v_fma_f64 v[98:99], v[98:99], 2.0, -v[122:123]
	v_fma_f64 v[60:61], v[118:119], 2.0, -v[56:57]
	v_add_f64 v[128:129], v[126:127], -v[62:63]
	v_fma_f64 v[146:147], v[64:65], 2.0, -v[120:121]
	v_fma_f64 v[62:63], v[68:69], 2.0, -v[76:77]
	s_mov_b32 s18, 0xcf328d46
	v_fmac_f64_e32 v[132:133], s[6:7], v[56:57]
	s_mov_b32 s15, 0xbfd87de2
	v_fmac_f64_e32 v[136:137], s[6:7], v[108:109]
	v_fma_f64 v[54:55], v[106:107], 2.0, -v[108:109]
	v_fma_f64 v[108:109], s[10:11], v[60:61], v[98:99]
	v_fma_f64 v[96:97], v[96:97], 2.0, -v[130:131]
	v_add_f64 v[148:149], v[146:147], -v[62:63]
	v_fma_f64 v[150:151], v[86:87], 2.0, -v[40:41]
	v_fma_f64 v[62:63], v[74:75], 2.0, -v[84:85]
	;; [unrolled: 1-line block ×4, first 2 shown]
	s_mov_b32 s19, 0x3fed906b
	v_fma_f64 v[48:49], v[82:83], 2.0, -v[48:49]
	v_fma_f64 v[58:59], v[114:115], 2.0, -v[116:117]
	v_fmac_f64_e32 v[108:109], s[10:11], v[72:73]
	v_fma_f64 v[114:115], s[10:11], v[72:73], v[96:97]
	s_mov_b32 s21, 0xbfed906b
	s_mov_b32 s20, s18
	v_add_f64 v[152:153], v[150:151], -v[62:63]
	v_fma_f64 v[62:63], v[78:79], 2.0, -v[90:91]
	v_fma_f64 v[72:73], s[14:15], v[74:75], v[70:71]
	v_fma_f64 v[78:79], v[130:131], 2.0, -v[132:133]
	v_add_f64 v[82:83], v[66:67], -v[48:49]
	v_add_f64 v[144:145], v[40:41], v[80:81]
	v_fmac_f64_e32 v[72:73], s[20:21], v[78:79]
	v_fma_f64 v[80:81], v[134:135], 2.0, -v[136:137]
	v_add_f64 v[140:141], v[138:139], -v[84:85]
	v_add_f64 v[88:89], v[82:83], -v[76:77]
	v_fma_f64 v[76:77], v[70:71], 2.0, -v[72:73]
	v_fma_f64 v[70:71], s[14:15], v[78:79], v[80:81]
	v_add_f64 v[142:143], v[90:91], v[120:121]
	v_fma_f64 v[154:155], v[66:67], 2.0, -v[82:83]
	v_fmac_f64_e32 v[70:71], s[18:19], v[74:75]
	v_fma_f64 v[78:79], v[138:139], 2.0, -v[140:141]
	v_fma_f64 v[82:83], v[82:83], 2.0, -v[88:89]
	;; [unrolled: 1-line block ×3, first 2 shown]
	v_fma_f64 v[80:81], s[10:11], v[82:83], v[78:79]
	v_fma_f64 v[86:87], v[120:121], 2.0, -v[142:143]
	v_fma_f64 v[94:95], v[94:95], 2.0, -v[110:111]
	v_fmac_f64_e32 v[80:81], s[10:11], v[86:87]
	v_fma_f64 v[40:41], v[40:41], 2.0, -v[144:145]
	v_fma_f64 v[106:107], s[10:11], v[54:55], v[94:95]
	v_fma_f64 v[84:85], v[78:79], 2.0, -v[80:81]
	v_fma_f64 v[78:79], s[10:11], v[86:87], v[40:41]
	v_fmac_f64_e32 v[106:107], s[10:11], v[58:59]
	v_fmac_f64_e32 v[78:79], s[6:7], v[82:83]
	v_fma_f64 v[46:47], s[6:7], v[142:143], v[144:145]
	v_fmac_f64_e32 v[114:115], s[6:7], v[60:61]
	v_fma_f64 v[116:117], v[92:93], 2.0, -v[134:135]
	v_fma_f64 v[82:83], v[40:41], 2.0, -v[78:79]
	;; [unrolled: 1-line block ×4, first 2 shown]
	v_fma_f64 v[48:49], s[6:7], v[88:89], v[140:141]
	v_fmac_f64_e32 v[46:47], s[6:7], v[88:89]
	v_fma_f64 v[118:119], s[10:11], v[58:59], v[116:117]
	v_fma_f64 v[88:89], s[20:21], v[90:91], v[40:41]
	v_fma_f64 v[86:87], v[96:97], 2.0, -v[114:115]
	v_fmac_f64_e32 v[118:119], s[6:7], v[54:55]
	v_fmac_f64_e32 v[88:89], s[14:15], v[86:87]
	v_fma_f64 v[92:93], v[40:41], 2.0, -v[88:89]
	v_fma_f64 v[40:41], v[116:117], 2.0, -v[118:119]
	s_mov_b32 s17, 0x3fd87de2
	s_mov_b32 s16, s14
	v_fma_f64 v[86:87], s[20:21], v[86:87], v[40:41]
	v_add_f64 v[156:157], v[154:155], -v[62:63]
	v_fmac_f64_e32 v[86:87], s[16:17], v[90:91]
	v_fma_f64 v[90:91], v[40:41], 2.0, -v[86:87]
	v_fma_f64 v[40:41], v[126:127], 2.0, -v[128:129]
	;; [unrolled: 1-line block ×3, first 2 shown]
	v_fma_f64 v[54:55], s[16:17], v[114:115], v[118:119]
	v_add_f64 v[96:97], v[40:41], -v[94:95]
	v_fma_f64 v[56:57], s[16:17], v[108:109], v[106:107]
	v_fmac_f64_e32 v[54:55], s[18:19], v[108:109]
	v_fma_f64 v[108:109], v[40:41], 2.0, -v[96:97]
	v_fma_f64 v[40:41], v[150:151], 2.0, -v[152:153]
	;; [unrolled: 1-line block ×3, first 2 shown]
	v_fma_f64 v[38:39], s[18:19], v[124:125], v[112:113]
	v_fma_f64 v[36:37], s[18:19], v[132:133], v[136:137]
	v_fmac_f64_e32 v[56:57], s[20:21], v[114:115]
	v_add_f64 v[94:95], v[40:41], -v[94:95]
	v_fmac_f64_e32 v[38:39], s[14:15], v[132:133]
	v_fmac_f64_e32 v[36:37], s[16:17], v[124:125]
	;; [unrolled: 1-line block ×3, first 2 shown]
	v_fma_f64 v[60:61], v[106:107], 2.0, -v[56:57]
	v_add_f64 v[64:65], v[128:129], -v[148:149]
	v_add_f64 v[62:63], v[152:153], v[156:157]
	v_fma_f64 v[106:107], v[40:41], 2.0, -v[94:95]
	v_add_lshl_u32 v40, v103, v101, 4
	v_fma_f64 v[44:45], v[112:113], 2.0, -v[38:39]
	v_fma_f64 v[42:43], v[136:137], 2.0, -v[36:37]
	;; [unrolled: 1-line block ×7, first 2 shown]
	ds_write_b128 v40, v[106:109]
	ds_write_b128 v40, v[90:93] offset:16
	ds_write_b128 v40, v[82:85] offset:32
	;; [unrolled: 1-line block ×15, first 2 shown]
.LBB0_13:
	s_or_b64 exec, exec, s[4:5]
	s_waitcnt lgkmcnt(0)
	s_barrier
	ds_read_b128 v[36:39], v104
	ds_read_b128 v[42:45], v104 offset:256
	ds_read_b128 v[46:49], v104 offset:512
	;; [unrolled: 1-line block ×9, first 2 shown]
	s_waitcnt lgkmcnt(8)
	v_mul_f64 v[40:41], v[26:27], v[44:45]
	v_mul_f64 v[26:27], v[26:27], v[42:43]
	v_fmac_f64_e32 v[40:41], v[24:25], v[42:43]
	v_fma_f64 v[24:25], v[24:25], v[44:45], -v[26:27]
	s_waitcnt lgkmcnt(7)
	v_mul_f64 v[26:27], v[10:11], v[48:49]
	v_mul_f64 v[10:11], v[10:11], v[46:47]
	v_fmac_f64_e32 v[26:27], v[8:9], v[46:47]
	v_fma_f64 v[8:9], v[8:9], v[48:49], -v[10:11]
	;; [unrolled: 5-line block ×8, first 2 shown]
	v_add_f64 v[42:43], v[6:7], v[30:31]
	s_mov_b32 s16, 0x134454ff
	v_fma_f64 v[42:43], -0.5, v[42:43], v[36:37]
	v_add_f64 v[44:45], v[8:9], -v[12:13]
	s_mov_b32 s17, 0xbfee6f0e
	s_mov_b32 s14, 0x4755a5e
	;; [unrolled: 1-line block ×4, first 2 shown]
	v_fma_f64 v[46:47], s[16:17], v[44:45], v[42:43]
	v_add_f64 v[48:49], v[0:1], -v[20:21]
	s_mov_b32 s15, 0xbfe2cf23
	v_add_f64 v[50:51], v[26:27], -v[6:7]
	v_add_f64 v[52:53], v[18:19], -v[30:31]
	s_mov_b32 s10, 0x372fe950
	v_fmac_f64_e32 v[42:43], s[6:7], v[44:45]
	s_mov_b32 s5, 0x3fe2cf23
	s_mov_b32 s4, s14
	s_waitcnt lgkmcnt(0)
	v_mul_f64 v[14:15], v[34:35], v[76:77]
	v_mul_f64 v[34:35], v[34:35], v[74:75]
	v_fmac_f64_e32 v[46:47], s[14:15], v[48:49]
	v_add_f64 v[50:51], v[50:51], v[52:53]
	s_mov_b32 s11, 0x3fd3c6ef
	v_fmac_f64_e32 v[42:43], s[4:5], v[48:49]
	v_fmac_f64_e32 v[14:15], v[32:33], v[74:75]
	v_fma_f64 v[32:33], v[32:33], v[76:77], -v[34:35]
	v_add_f64 v[34:35], v[36:37], v[26:27]
	v_fmac_f64_e32 v[46:47], s[10:11], v[50:51]
	v_fmac_f64_e32 v[42:43], s[10:11], v[50:51]
	v_add_f64 v[50:51], v[26:27], v[18:19]
	v_add_f64 v[34:35], v[34:35], v[6:7]
	v_fmac_f64_e32 v[36:37], -0.5, v[50:51]
	v_add_f64 v[34:35], v[34:35], v[30:31]
	v_fma_f64 v[50:51], s[6:7], v[48:49], v[36:37]
	v_add_f64 v[52:53], v[6:7], -v[26:27]
	v_add_f64 v[54:55], v[30:31], -v[18:19]
	v_fmac_f64_e32 v[36:37], s[16:17], v[48:49]
	v_add_f64 v[48:49], v[0:1], v[20:21]
	v_add_f64 v[34:35], v[34:35], v[18:19]
	v_fmac_f64_e32 v[50:51], s[14:15], v[44:45]
	v_add_f64 v[52:53], v[52:53], v[54:55]
	v_fmac_f64_e32 v[36:37], s[4:5], v[44:45]
	v_fma_f64 v[48:49], -0.5, v[48:49], v[38:39]
	v_add_f64 v[18:19], v[26:27], -v[18:19]
	v_fmac_f64_e32 v[50:51], s[10:11], v[52:53]
	v_fmac_f64_e32 v[36:37], s[10:11], v[52:53]
	v_fma_f64 v[26:27], s[6:7], v[18:19], v[48:49]
	v_add_f64 v[6:7], v[6:7], -v[30:31]
	v_add_f64 v[30:31], v[8:9], -v[0:1]
	;; [unrolled: 1-line block ×3, first 2 shown]
	v_fmac_f64_e32 v[48:49], s[16:17], v[18:19]
	v_fmac_f64_e32 v[26:27], s[4:5], v[6:7]
	v_add_f64 v[30:31], v[30:31], v[52:53]
	v_fmac_f64_e32 v[48:49], s[14:15], v[6:7]
	v_fmac_f64_e32 v[26:27], s[10:11], v[30:31]
	;; [unrolled: 1-line block ×3, first 2 shown]
	v_add_f64 v[30:31], v[8:9], v[12:13]
	v_add_f64 v[44:45], v[38:39], v[8:9]
	v_fmac_f64_e32 v[38:39], -0.5, v[30:31]
	v_add_f64 v[44:45], v[44:45], v[0:1]
	v_fma_f64 v[30:31], s[16:17], v[6:7], v[38:39]
	v_add_f64 v[0:1], v[0:1], -v[8:9]
	v_add_f64 v[8:9], v[20:21], -v[12:13]
	v_fmac_f64_e32 v[38:39], s[6:7], v[6:7]
	v_fmac_f64_e32 v[30:31], s[4:5], v[18:19]
	v_add_f64 v[0:1], v[0:1], v[8:9]
	v_fmac_f64_e32 v[38:39], s[14:15], v[18:19]
	v_fmac_f64_e32 v[30:31], s[10:11], v[0:1]
	;; [unrolled: 1-line block ×3, first 2 shown]
	v_add_f64 v[0:1], v[40:41], v[10:11]
	v_add_f64 v[0:1], v[0:1], v[2:3]
	;; [unrolled: 1-line block ×6, first 2 shown]
	v_fma_f64 v[18:19], -0.5, v[0:1], v[40:41]
	v_add_f64 v[0:1], v[4:5], -v[32:33]
	v_add_f64 v[44:45], v[44:45], v[12:13]
	v_fma_f64 v[6:7], s[16:17], v[0:1], v[18:19]
	v_add_f64 v[8:9], v[28:29], -v[16:17]
	v_add_f64 v[12:13], v[10:11], -v[2:3]
	;; [unrolled: 1-line block ×3, first 2 shown]
	v_fmac_f64_e32 v[18:19], s[6:7], v[0:1]
	v_fmac_f64_e32 v[6:7], s[14:15], v[8:9]
	v_add_f64 v[12:13], v[12:13], v[52:53]
	v_fmac_f64_e32 v[18:19], s[4:5], v[8:9]
	v_fmac_f64_e32 v[6:7], s[10:11], v[12:13]
	;; [unrolled: 1-line block ×3, first 2 shown]
	v_add_f64 v[12:13], v[10:11], v[14:15]
	v_fmac_f64_e32 v[40:41], -0.5, v[12:13]
	v_fma_f64 v[52:53], s[6:7], v[8:9], v[40:41]
	v_fmac_f64_e32 v[40:41], s[16:17], v[8:9]
	v_fmac_f64_e32 v[52:53], s[14:15], v[0:1]
	;; [unrolled: 1-line block ×3, first 2 shown]
	v_add_f64 v[0:1], v[24:25], v[4:5]
	v_add_f64 v[0:1], v[0:1], v[28:29]
	v_add_f64 v[12:13], v[2:3], -v[10:11]
	v_add_f64 v[54:55], v[22:23], -v[14:15]
	v_add_f64 v[0:1], v[0:1], v[16:17]
	v_add_f64 v[12:13], v[12:13], v[54:55]
	;; [unrolled: 1-line block ×4, first 2 shown]
	v_fma_f64 v[56:57], -0.5, v[0:1], v[24:25]
	v_add_f64 v[0:1], v[10:11], -v[14:15]
	v_fmac_f64_e32 v[52:53], s[10:11], v[12:13]
	v_fmac_f64_e32 v[40:41], s[10:11], v[12:13]
	v_fma_f64 v[10:11], s[6:7], v[0:1], v[56:57]
	v_add_f64 v[2:3], v[2:3], -v[22:23]
	v_add_f64 v[8:9], v[4:5], -v[28:29]
	;; [unrolled: 1-line block ×3, first 2 shown]
	v_fmac_f64_e32 v[56:57], s[16:17], v[0:1]
	v_fmac_f64_e32 v[10:11], s[4:5], v[2:3]
	v_add_f64 v[8:9], v[8:9], v[12:13]
	v_fmac_f64_e32 v[56:57], s[14:15], v[2:3]
	v_fmac_f64_e32 v[10:11], s[10:11], v[8:9]
	;; [unrolled: 1-line block ×3, first 2 shown]
	v_add_f64 v[8:9], v[4:5], v[32:33]
	v_fmac_f64_e32 v[24:25], -0.5, v[8:9]
	v_fma_f64 v[14:15], s[16:17], v[2:3], v[24:25]
	v_add_f64 v[4:5], v[28:29], -v[4:5]
	v_add_f64 v[8:9], v[16:17], -v[32:33]
	v_fmac_f64_e32 v[24:25], s[6:7], v[2:3]
	v_fmac_f64_e32 v[14:15], s[4:5], v[0:1]
	v_add_f64 v[4:5], v[4:5], v[8:9]
	v_fmac_f64_e32 v[24:25], s[14:15], v[0:1]
	v_fmac_f64_e32 v[14:15], s[10:11], v[4:5]
	;; [unrolled: 1-line block ×3, first 2 shown]
	s_mov_b32 s18, 0x9b97f4a8
	v_mul_f64 v[28:29], v[14:15], s[16:17]
	v_mul_f64 v[32:33], v[24:25], s[16:17]
	s_mov_b32 s17, 0xbfd3c6ef
	s_mov_b32 s16, s10
	v_mul_f64 v[62:63], v[14:15], s[10:11]
	v_mul_f64 v[22:23], v[10:11], s[14:15]
	s_mov_b32 s19, 0x3fe9e377
	v_fmac_f64_e32 v[28:29], s[10:11], v[52:53]
	v_mul_f64 v[58:59], v[56:57], s[14:15]
	s_mov_b32 s15, 0xbfe9e377
	s_mov_b32 s14, s18
	v_fmac_f64_e32 v[62:63], s[6:7], v[52:53]
	v_mul_f64 v[52:53], v[24:25], s[16:17]
	v_fmac_f64_e32 v[32:33], s[16:17], v[40:41]
	v_mul_f64 v[60:61], v[10:11], s[18:19]
	;; [unrolled: 2-line block ×3, first 2 shown]
	v_add_f64 v[0:1], v[34:35], v[20:21]
	v_fmac_f64_e32 v[22:23], s[18:19], v[6:7]
	v_fmac_f64_e32 v[58:59], s[14:15], v[18:19]
	v_add_f64 v[2:3], v[44:45], v[54:55]
	v_fmac_f64_e32 v[60:61], s[4:5], v[6:7]
	v_fmac_f64_e32 v[40:41], s[4:5], v[18:19]
	v_add_f64 v[4:5], v[46:47], v[22:23]
	v_add_f64 v[8:9], v[50:51], v[28:29]
	;; [unrolled: 1-line block ×8, first 2 shown]
	v_add_f64 v[20:21], v[34:35], -v[20:21]
	v_add_f64 v[24:25], v[46:47], -v[22:23]
	;; [unrolled: 1-line block ×10, first 2 shown]
	ds_write_b128 v104, v[0:3]
	ds_write_b128 v104, v[4:7] offset:256
	ds_write_b128 v105, v[8:11] offset:512
	;; [unrolled: 1-line block ×9, first 2 shown]
	s_waitcnt lgkmcnt(0)
	s_barrier
	s_and_b64 exec, exec, vcc
	s_cbranch_execz .LBB0_15
; %bb.14:
	global_load_dwordx4 v[0:3], v101, s[8:9]
	global_load_dwordx4 v[4:7], v101, s[8:9] offset:160
	global_load_dwordx4 v[8:11], v101, s[8:9] offset:320
	;; [unrolled: 1-line block ×5, first 2 shown]
	ds_read_b128 v[24:27], v104
	ds_read_b128 v[28:31], v105 offset:160
	global_load_dwordx4 v[32:35], v101, s[8:9] offset:960
	ds_read_b128 v[36:39], v105 offset:320
	ds_read_b128 v[40:43], v105 offset:480
	;; [unrolled: 1-line block ×4, first 2 shown]
	global_load_dwordx4 v[52:55], v101, s[8:9] offset:1120
	global_load_dwordx4 v[56:59], v101, s[8:9] offset:1280
	;; [unrolled: 1-line block ×5, first 2 shown]
	v_mad_u64_u32 v[74:75], s[4:5], s2, v100, 0
	v_mad_u64_u32 v[76:77], s[6:7], s0, v102, 0
	v_mov_b32_e32 v78, v75
	v_mov_b32_e32 v80, v77
	v_mad_u64_u32 v[78:79], s[6:7], s3, v100, v[78:79]
	v_mov_b32_e32 v72, s12
	v_mov_b32_e32 v73, s13
	v_mad_u64_u32 v[80:81], s[6:7], s1, v102, v[80:81]
	v_mov_b32_e32 v75, v78
	v_mov_b32_e32 v77, v80
	v_lshl_add_u64 v[72:73], v[74:75], 4, v[72:73]
	v_mov_b32_e32 v92, 0xa0
	v_lshl_add_u64 v[72:73], v[76:77], 4, v[72:73]
	s_mul_i32 s2, s1, 0xa0
	v_mad_u64_u32 v[74:75], s[6:7], s0, v92, v[72:73]
	v_add_u32_e32 v75, s2, v75
	v_mad_u64_u32 v[76:77], s[6:7], s0, v92, v[74:75]
	v_add_u32_e32 v77, s2, v77
	s_mov_b32 s4, 0x9999999a
	v_mad_u64_u32 v[78:79], s[6:7], s0, v92, v[76:77]
	s_mov_b32 s5, 0x3f799999
	v_add_u32_e32 v79, s2, v79
	v_mad_u64_u32 v[80:81], s[6:7], s0, v92, v[78:79]
	v_add_u32_e32 v81, s2, v81
	s_waitcnt vmcnt(11) lgkmcnt(5)
	v_mul_f64 v[82:83], v[26:27], v[2:3]
	v_mul_f64 v[2:3], v[24:25], v[2:3]
	s_waitcnt vmcnt(10) lgkmcnt(4)
	v_mul_f64 v[84:85], v[30:31], v[6:7]
	v_mul_f64 v[6:7], v[28:29], v[6:7]
	;; [unrolled: 3-line block ×5, first 2 shown]
	v_fmac_f64_e32 v[82:83], v[24:25], v[0:1]
	v_fma_f64 v[2:3], v[0:1], v[26:27], -v[2:3]
	v_fmac_f64_e32 v[84:85], v[28:29], v[4:5]
	v_fma_f64 v[6:7], v[4:5], v[30:31], -v[6:7]
	v_fmac_f64_e32 v[86:87], v[36:37], v[8:9]
	v_fma_f64 v[10:11], v[8:9], v[38:39], -v[10:11]
	v_fmac_f64_e32 v[88:89], v[40:41], v[12:13]
	v_fma_f64 v[14:15], v[12:13], v[42:43], -v[14:15]
	v_fmac_f64_e32 v[90:91], v[44:45], v[16:17]
	v_fma_f64 v[18:19], v[16:17], v[46:47], -v[18:19]
	v_mul_f64 v[0:1], v[82:83], s[4:5]
	v_mul_f64 v[2:3], v[2:3], s[4:5]
	;; [unrolled: 1-line block ×10, first 2 shown]
	global_store_dwordx4 v[72:73], v[0:3], off
	global_store_dwordx4 v[74:75], v[4:7], off
	;; [unrolled: 1-line block ×5, first 2 shown]
	s_waitcnt vmcnt(11) lgkmcnt(0)
	v_mul_f64 v[0:1], v[50:51], v[22:23]
	v_mul_f64 v[2:3], v[48:49], v[22:23]
	ds_read_b128 v[4:7], v105 offset:960
	v_fmac_f64_e32 v[0:1], v[48:49], v[20:21]
	v_fma_f64 v[2:3], v[20:21], v[50:51], -v[2:3]
	v_mad_u64_u32 v[12:13], s[6:7], s0, v92, v[80:81]
	v_mul_f64 v[0:1], v[0:1], s[4:5]
	v_mul_f64 v[2:3], v[2:3], s[4:5]
	v_add_u32_e32 v13, s2, v13
	global_store_dwordx4 v[12:13], v[0:3], off
	ds_read_b128 v[0:3], v105 offset:1120
	s_waitcnt vmcnt(11) lgkmcnt(1)
	v_mul_f64 v[8:9], v[6:7], v[34:35]
	v_fmac_f64_e32 v[8:9], v[4:5], v[32:33]
	v_mul_f64 v[4:5], v[4:5], v[34:35]
	v_fma_f64 v[4:5], v[32:33], v[6:7], -v[4:5]
	v_mul_f64 v[10:11], v[4:5], s[4:5]
	s_waitcnt vmcnt(10) lgkmcnt(0)
	v_mul_f64 v[4:5], v[2:3], v[54:55]
	v_fmac_f64_e32 v[4:5], v[0:1], v[52:53]
	v_mul_f64 v[0:1], v[0:1], v[54:55]
	v_mad_u64_u32 v[12:13], s[6:7], s0, v92, v[12:13]
	v_fma_f64 v[0:1], v[52:53], v[2:3], -v[0:1]
	v_mul_f64 v[8:9], v[8:9], s[4:5]
	v_add_u32_e32 v13, s2, v13
	v_mul_f64 v[6:7], v[0:1], s[4:5]
	ds_read_b128 v[0:3], v105 offset:1280
	global_store_dwordx4 v[12:13], v[8:11], off
	v_mad_u64_u32 v[12:13], s[6:7], s0, v92, v[12:13]
	v_mul_f64 v[4:5], v[4:5], s[4:5]
	v_add_u32_e32 v13, s2, v13
	global_store_dwordx4 v[12:13], v[4:7], off
	ds_read_b128 v[4:7], v105 offset:1440
	s_waitcnt vmcnt(11) lgkmcnt(1)
	v_mul_f64 v[8:9], v[2:3], v[58:59]
	v_fmac_f64_e32 v[8:9], v[0:1], v[56:57]
	v_mul_f64 v[0:1], v[0:1], v[58:59]
	v_fma_f64 v[0:1], v[56:57], v[2:3], -v[0:1]
	v_mul_f64 v[10:11], v[0:1], s[4:5]
	v_mad_u64_u32 v[12:13], s[6:7], s0, v92, v[12:13]
	s_waitcnt vmcnt(10) lgkmcnt(0)
	v_mul_f64 v[0:1], v[6:7], v[62:63]
	v_mul_f64 v[2:3], v[4:5], v[62:63]
	;; [unrolled: 1-line block ×3, first 2 shown]
	v_add_u32_e32 v13, s2, v13
	v_fmac_f64_e32 v[0:1], v[4:5], v[60:61]
	v_fma_f64 v[2:3], v[60:61], v[6:7], -v[2:3]
	ds_read_b128 v[4:7], v105 offset:1600
	global_store_dwordx4 v[12:13], v[8:11], off
	v_mad_u64_u32 v[12:13], s[6:7], s0, v92, v[12:13]
	v_mul_f64 v[0:1], v[0:1], s[4:5]
	v_mul_f64 v[2:3], v[2:3], s[4:5]
	v_add_u32_e32 v13, s2, v13
	global_store_dwordx4 v[12:13], v[0:3], off
	ds_read_b128 v[0:3], v105 offset:1760
	s_waitcnt vmcnt(11) lgkmcnt(1)
	v_mul_f64 v[8:9], v[6:7], v[66:67]
	v_fmac_f64_e32 v[8:9], v[4:5], v[64:65]
	v_mul_f64 v[4:5], v[4:5], v[66:67]
	v_fma_f64 v[4:5], v[64:65], v[6:7], -v[4:5]
	v_mul_f64 v[10:11], v[4:5], s[4:5]
	v_mad_u64_u32 v[12:13], s[6:7], s0, v92, v[12:13]
	s_waitcnt vmcnt(10) lgkmcnt(0)
	v_mul_f64 v[4:5], v[2:3], v[70:71]
	v_add_u32_e32 v13, s2, v13
	v_fmac_f64_e32 v[4:5], v[0:1], v[68:69]
	v_mul_f64 v[0:1], v[0:1], v[70:71]
	v_fma_f64 v[0:1], v[68:69], v[2:3], -v[0:1]
	v_mad_u64_u32 v[16:17], s[6:7], s0, v92, v[12:13]
	v_mul_f64 v[8:9], v[8:9], s[4:5]
	v_mul_f64 v[4:5], v[4:5], s[4:5]
	;; [unrolled: 1-line block ×3, first 2 shown]
	v_add_u32_e32 v17, s2, v17
	global_store_dwordx4 v[12:13], v[8:11], off
	global_store_dwordx4 v[16:17], v[4:7], off
	global_load_dwordx4 v[0:3], v101, s[8:9] offset:1920
	ds_read_b128 v[4:7], v105 offset:1920
	ds_read_b128 v[8:11], v105 offset:2080
	s_waitcnt vmcnt(0) lgkmcnt(1)
	v_mul_f64 v[12:13], v[6:7], v[2:3]
	v_mul_f64 v[2:3], v[4:5], v[2:3]
	v_fmac_f64_e32 v[12:13], v[4:5], v[0:1]
	v_fma_f64 v[0:1], v[0:1], v[6:7], -v[2:3]
	v_mad_u64_u32 v[4:5], s[6:7], s0, v92, v[16:17]
	v_mul_f64 v[12:13], v[12:13], s[4:5]
	v_mul_f64 v[14:15], v[0:1], s[4:5]
	v_add_u32_e32 v5, s2, v5
	global_store_dwordx4 v[4:5], v[12:15], off
	global_load_dwordx4 v[0:3], v101, s[8:9] offset:2080
	s_nop 0
	v_mad_u64_u32 v[12:13], s[6:7], s0, v92, v[4:5]
	v_add_u32_e32 v13, s2, v13
	s_waitcnt vmcnt(0) lgkmcnt(0)
	v_mul_f64 v[4:5], v[10:11], v[2:3]
	v_mul_f64 v[2:3], v[8:9], v[2:3]
	v_fmac_f64_e32 v[4:5], v[8:9], v[0:1]
	v_fma_f64 v[2:3], v[0:1], v[10:11], -v[2:3]
	v_mul_f64 v[0:1], v[4:5], s[4:5]
	v_mul_f64 v[2:3], v[2:3], s[4:5]
	global_store_dwordx4 v[12:13], v[0:3], off
	global_load_dwordx4 v[0:3], v101, s[8:9] offset:2240
	ds_read_b128 v[4:7], v105 offset:2240
	ds_read_b128 v[8:11], v105 offset:2400
	v_mad_u64_u32 v[12:13], s[6:7], s0, v92, v[12:13]
	v_add_u32_e32 v13, s2, v13
	s_waitcnt vmcnt(0) lgkmcnt(1)
	v_mul_f64 v[14:15], v[6:7], v[2:3]
	v_mul_f64 v[2:3], v[4:5], v[2:3]
	v_fmac_f64_e32 v[14:15], v[4:5], v[0:1]
	v_fma_f64 v[2:3], v[0:1], v[6:7], -v[2:3]
	v_mul_f64 v[0:1], v[14:15], s[4:5]
	v_mul_f64 v[2:3], v[2:3], s[4:5]
	global_store_dwordx4 v[12:13], v[0:3], off
	global_load_dwordx4 v[0:3], v101, s[8:9] offset:2400
	v_mad_u64_u32 v[4:5], s[0:1], s0, v92, v[12:13]
	v_add_u32_e32 v5, s2, v5
	s_waitcnt vmcnt(0) lgkmcnt(0)
	v_mul_f64 v[6:7], v[10:11], v[2:3]
	v_mul_f64 v[2:3], v[8:9], v[2:3]
	v_fmac_f64_e32 v[6:7], v[8:9], v[0:1]
	v_fma_f64 v[2:3], v[0:1], v[10:11], -v[2:3]
	v_mul_f64 v[0:1], v[6:7], s[4:5]
	v_mul_f64 v[2:3], v[2:3], s[4:5]
	global_store_dwordx4 v[4:5], v[0:3], off
.LBB0_15:
	s_endpgm
	.section	.rodata,"a",@progbits
	.p2align	6, 0x0
	.amdhsa_kernel bluestein_single_back_len160_dim1_dp_op_CI_CI
		.amdhsa_group_segment_fixed_size 40960
		.amdhsa_private_segment_fixed_size 0
		.amdhsa_kernarg_size 104
		.amdhsa_user_sgpr_count 2
		.amdhsa_user_sgpr_dispatch_ptr 0
		.amdhsa_user_sgpr_queue_ptr 0
		.amdhsa_user_sgpr_kernarg_segment_ptr 1
		.amdhsa_user_sgpr_dispatch_id 0
		.amdhsa_user_sgpr_kernarg_preload_length 0
		.amdhsa_user_sgpr_kernarg_preload_offset 0
		.amdhsa_user_sgpr_private_segment_size 0
		.amdhsa_uses_dynamic_stack 0
		.amdhsa_enable_private_segment 0
		.amdhsa_system_sgpr_workgroup_id_x 1
		.amdhsa_system_sgpr_workgroup_id_y 0
		.amdhsa_system_sgpr_workgroup_id_z 0
		.amdhsa_system_sgpr_workgroup_info 0
		.amdhsa_system_vgpr_workitem_id 0
		.amdhsa_next_free_vgpr 158
		.amdhsa_next_free_sgpr 22
		.amdhsa_accum_offset 160
		.amdhsa_reserve_vcc 1
		.amdhsa_float_round_mode_32 0
		.amdhsa_float_round_mode_16_64 0
		.amdhsa_float_denorm_mode_32 3
		.amdhsa_float_denorm_mode_16_64 3
		.amdhsa_dx10_clamp 1
		.amdhsa_ieee_mode 1
		.amdhsa_fp16_overflow 0
		.amdhsa_tg_split 0
		.amdhsa_exception_fp_ieee_invalid_op 0
		.amdhsa_exception_fp_denorm_src 0
		.amdhsa_exception_fp_ieee_div_zero 0
		.amdhsa_exception_fp_ieee_overflow 0
		.amdhsa_exception_fp_ieee_underflow 0
		.amdhsa_exception_fp_ieee_inexact 0
		.amdhsa_exception_int_div_zero 0
	.end_amdhsa_kernel
	.text
.Lfunc_end0:
	.size	bluestein_single_back_len160_dim1_dp_op_CI_CI, .Lfunc_end0-bluestein_single_back_len160_dim1_dp_op_CI_CI
                                        ; -- End function
	.section	.AMDGPU.csdata,"",@progbits
; Kernel info:
; codeLenInByte = 9900
; NumSgprs: 28
; NumVgprs: 158
; NumAgprs: 0
; TotalNumVgprs: 158
; ScratchSize: 0
; MemoryBound: 0
; FloatMode: 240
; IeeeMode: 1
; LDSByteSize: 40960 bytes/workgroup (compile time only)
; SGPRBlocks: 3
; VGPRBlocks: 19
; NumSGPRsForWavesPerEU: 28
; NumVGPRsForWavesPerEU: 158
; AccumOffset: 160
; Occupancy: 3
; WaveLimiterHint : 1
; COMPUTE_PGM_RSRC2:SCRATCH_EN: 0
; COMPUTE_PGM_RSRC2:USER_SGPR: 2
; COMPUTE_PGM_RSRC2:TRAP_HANDLER: 0
; COMPUTE_PGM_RSRC2:TGID_X_EN: 1
; COMPUTE_PGM_RSRC2:TGID_Y_EN: 0
; COMPUTE_PGM_RSRC2:TGID_Z_EN: 0
; COMPUTE_PGM_RSRC2:TIDIG_COMP_CNT: 0
; COMPUTE_PGM_RSRC3_GFX90A:ACCUM_OFFSET: 39
; COMPUTE_PGM_RSRC3_GFX90A:TG_SPLIT: 0
	.text
	.p2alignl 6, 3212836864
	.fill 256, 4, 3212836864
	.type	__hip_cuid_a5b5fb604d2210fc,@object ; @__hip_cuid_a5b5fb604d2210fc
	.section	.bss,"aw",@nobits
	.globl	__hip_cuid_a5b5fb604d2210fc
__hip_cuid_a5b5fb604d2210fc:
	.byte	0                               ; 0x0
	.size	__hip_cuid_a5b5fb604d2210fc, 1

	.ident	"AMD clang version 19.0.0git (https://github.com/RadeonOpenCompute/llvm-project roc-6.4.0 25133 c7fe45cf4b819c5991fe208aaa96edf142730f1d)"
	.section	".note.GNU-stack","",@progbits
	.addrsig
	.addrsig_sym __hip_cuid_a5b5fb604d2210fc
	.amdgpu_metadata
---
amdhsa.kernels:
  - .agpr_count:     0
    .args:
      - .actual_access:  read_only
        .address_space:  global
        .offset:         0
        .size:           8
        .value_kind:     global_buffer
      - .actual_access:  read_only
        .address_space:  global
        .offset:         8
        .size:           8
        .value_kind:     global_buffer
      - .actual_access:  read_only
        .address_space:  global
        .offset:         16
        .size:           8
        .value_kind:     global_buffer
      - .actual_access:  read_only
        .address_space:  global
        .offset:         24
        .size:           8
        .value_kind:     global_buffer
      - .actual_access:  read_only
        .address_space:  global
        .offset:         32
        .size:           8
        .value_kind:     global_buffer
      - .offset:         40
        .size:           8
        .value_kind:     by_value
      - .address_space:  global
        .offset:         48
        .size:           8
        .value_kind:     global_buffer
      - .address_space:  global
        .offset:         56
        .size:           8
        .value_kind:     global_buffer
      - .address_space:  global
        .offset:         64
        .size:           8
        .value_kind:     global_buffer
      - .address_space:  global
        .offset:         72
        .size:           8
        .value_kind:     global_buffer
      - .offset:         80
        .size:           4
        .value_kind:     by_value
      - .address_space:  global
        .offset:         88
        .size:           8
        .value_kind:     global_buffer
      - .address_space:  global
        .offset:         96
        .size:           8
        .value_kind:     global_buffer
    .group_segment_fixed_size: 40960
    .kernarg_segment_align: 8
    .kernarg_segment_size: 104
    .language:       OpenCL C
    .language_version:
      - 2
      - 0
    .max_flat_workgroup_size: 256
    .name:           bluestein_single_back_len160_dim1_dp_op_CI_CI
    .private_segment_fixed_size: 0
    .sgpr_count:     28
    .sgpr_spill_count: 0
    .symbol:         bluestein_single_back_len160_dim1_dp_op_CI_CI.kd
    .uniform_work_group_size: 1
    .uses_dynamic_stack: false
    .vgpr_count:     158
    .vgpr_spill_count: 0
    .wavefront_size: 64
amdhsa.target:   amdgcn-amd-amdhsa--gfx950
amdhsa.version:
  - 1
  - 2
...

	.end_amdgpu_metadata
